;; amdgpu-corpus repo=ROCm/rocFFT kind=compiled arch=gfx1030 opt=O3
	.text
	.amdgcn_target "amdgcn-amd-amdhsa--gfx1030"
	.amdhsa_code_object_version 6
	.protected	fft_rtc_back_len1134_factors_2_3_3_3_3_7_wgs_126_tpt_126_sp_op_CI_CI_sbrr_dirReg ; -- Begin function fft_rtc_back_len1134_factors_2_3_3_3_3_7_wgs_126_tpt_126_sp_op_CI_CI_sbrr_dirReg
	.globl	fft_rtc_back_len1134_factors_2_3_3_3_3_7_wgs_126_tpt_126_sp_op_CI_CI_sbrr_dirReg
	.p2align	8
	.type	fft_rtc_back_len1134_factors_2_3_3_3_3_7_wgs_126_tpt_126_sp_op_CI_CI_sbrr_dirReg,@function
fft_rtc_back_len1134_factors_2_3_3_3_3_7_wgs_126_tpt_126_sp_op_CI_CI_sbrr_dirReg: ; @fft_rtc_back_len1134_factors_2_3_3_3_3_7_wgs_126_tpt_126_sp_op_CI_CI_sbrr_dirReg
; %bb.0:
	s_clause 0x2
	s_load_dwordx4 s[16:19], s[4:5], 0x18
	s_load_dwordx4 s[12:15], s[4:5], 0x0
	;; [unrolled: 1-line block ×3, first 2 shown]
	v_mul_u32_u24_e32 v1, 0x209, v0
	v_mov_b32_e32 v3, 0
	s_waitcnt lgkmcnt(0)
	s_load_dwordx2 s[20:21], s[16:17], 0x0
	s_load_dwordx2 s[2:3], s[18:19], 0x0
	v_cmp_lt_u64_e64 s0, s[14:15], 2
	v_add_nc_u32_sdwa v5, s6, v1 dst_sel:DWORD dst_unused:UNUSED_PAD src0_sel:DWORD src1_sel:WORD_1
	v_mov_b32_e32 v1, 0
	v_mov_b32_e32 v6, v3
	;; [unrolled: 1-line block ×3, first 2 shown]
	s_and_b32 vcc_lo, exec_lo, s0
	s_cbranch_vccnz .LBB0_8
; %bb.1:
	s_load_dwordx2 s[0:1], s[4:5], 0x10
	v_mov_b32_e32 v1, 0
	v_mov_b32_e32 v2, 0
	s_add_u32 s6, s18, 8
	s_addc_u32 s7, s19, 0
	s_add_u32 s22, s16, 8
	s_addc_u32 s23, s17, 0
	v_mov_b32_e32 v21, v2
	v_mov_b32_e32 v20, v1
	s_mov_b64 s[26:27], 1
	s_waitcnt lgkmcnt(0)
	s_add_u32 s24, s0, 8
	s_addc_u32 s25, s1, 0
.LBB0_2:                                ; =>This Inner Loop Header: Depth=1
	s_load_dwordx2 s[28:29], s[24:25], 0x0
                                        ; implicit-def: $vgpr22_vgpr23
	s_mov_b32 s0, exec_lo
	s_waitcnt lgkmcnt(0)
	v_or_b32_e32 v4, s29, v6
	v_cmpx_ne_u64_e32 0, v[3:4]
	s_xor_b32 s1, exec_lo, s0
	s_cbranch_execz .LBB0_4
; %bb.3:                                ;   in Loop: Header=BB0_2 Depth=1
	v_cvt_f32_u32_e32 v4, s28
	v_cvt_f32_u32_e32 v7, s29
	s_sub_u32 s0, 0, s28
	s_subb_u32 s30, 0, s29
	v_fmac_f32_e32 v4, 0x4f800000, v7
	v_rcp_f32_e32 v4, v4
	v_mul_f32_e32 v4, 0x5f7ffffc, v4
	v_mul_f32_e32 v7, 0x2f800000, v4
	v_trunc_f32_e32 v7, v7
	v_fmac_f32_e32 v4, 0xcf800000, v7
	v_cvt_u32_f32_e32 v7, v7
	v_cvt_u32_f32_e32 v4, v4
	v_mul_lo_u32 v8, s0, v7
	v_mul_hi_u32 v9, s0, v4
	v_mul_lo_u32 v10, s30, v4
	v_add_nc_u32_e32 v8, v9, v8
	v_mul_lo_u32 v9, s0, v4
	v_add_nc_u32_e32 v8, v8, v10
	v_mul_hi_u32 v10, v4, v9
	v_mul_lo_u32 v11, v4, v8
	v_mul_hi_u32 v12, v4, v8
	v_mul_hi_u32 v13, v7, v9
	v_mul_lo_u32 v9, v7, v9
	v_mul_hi_u32 v14, v7, v8
	v_mul_lo_u32 v8, v7, v8
	v_add_co_u32 v10, vcc_lo, v10, v11
	v_add_co_ci_u32_e32 v11, vcc_lo, 0, v12, vcc_lo
	v_add_co_u32 v9, vcc_lo, v10, v9
	v_add_co_ci_u32_e32 v9, vcc_lo, v11, v13, vcc_lo
	v_add_co_ci_u32_e32 v10, vcc_lo, 0, v14, vcc_lo
	v_add_co_u32 v8, vcc_lo, v9, v8
	v_add_co_ci_u32_e32 v9, vcc_lo, 0, v10, vcc_lo
	v_add_co_u32 v4, vcc_lo, v4, v8
	v_add_co_ci_u32_e32 v7, vcc_lo, v7, v9, vcc_lo
	v_mul_hi_u32 v8, s0, v4
	v_mul_lo_u32 v10, s30, v4
	v_mul_lo_u32 v9, s0, v7
	v_add_nc_u32_e32 v8, v8, v9
	v_mul_lo_u32 v9, s0, v4
	v_add_nc_u32_e32 v8, v8, v10
	v_mul_hi_u32 v10, v4, v9
	v_mul_lo_u32 v11, v4, v8
	v_mul_hi_u32 v12, v4, v8
	v_mul_hi_u32 v13, v7, v9
	v_mul_lo_u32 v9, v7, v9
	v_mul_hi_u32 v14, v7, v8
	v_mul_lo_u32 v8, v7, v8
	v_add_co_u32 v10, vcc_lo, v10, v11
	v_add_co_ci_u32_e32 v11, vcc_lo, 0, v12, vcc_lo
	v_add_co_u32 v9, vcc_lo, v10, v9
	v_add_co_ci_u32_e32 v9, vcc_lo, v11, v13, vcc_lo
	v_add_co_ci_u32_e32 v10, vcc_lo, 0, v14, vcc_lo
	v_add_co_u32 v8, vcc_lo, v9, v8
	v_add_co_ci_u32_e32 v9, vcc_lo, 0, v10, vcc_lo
	v_add_co_u32 v4, vcc_lo, v4, v8
	v_add_co_ci_u32_e32 v11, vcc_lo, v7, v9, vcc_lo
	v_mul_hi_u32 v13, v5, v4
	v_mad_u64_u32 v[9:10], null, v6, v4, 0
	v_mad_u64_u32 v[7:8], null, v5, v11, 0
	v_mad_u64_u32 v[11:12], null, v6, v11, 0
	v_add_co_u32 v4, vcc_lo, v13, v7
	v_add_co_ci_u32_e32 v7, vcc_lo, 0, v8, vcc_lo
	v_add_co_u32 v4, vcc_lo, v4, v9
	v_add_co_ci_u32_e32 v4, vcc_lo, v7, v10, vcc_lo
	v_add_co_ci_u32_e32 v7, vcc_lo, 0, v12, vcc_lo
	v_add_co_u32 v4, vcc_lo, v4, v11
	v_add_co_ci_u32_e32 v9, vcc_lo, 0, v7, vcc_lo
	v_mul_lo_u32 v10, s29, v4
	v_mad_u64_u32 v[7:8], null, s28, v4, 0
	v_mul_lo_u32 v11, s28, v9
	v_sub_co_u32 v7, vcc_lo, v5, v7
	v_add3_u32 v8, v8, v11, v10
	v_sub_nc_u32_e32 v10, v6, v8
	v_subrev_co_ci_u32_e64 v10, s0, s29, v10, vcc_lo
	v_add_co_u32 v11, s0, v4, 2
	v_add_co_ci_u32_e64 v12, s0, 0, v9, s0
	v_sub_co_u32 v13, s0, v7, s28
	v_sub_co_ci_u32_e32 v8, vcc_lo, v6, v8, vcc_lo
	v_subrev_co_ci_u32_e64 v10, s0, 0, v10, s0
	v_cmp_le_u32_e32 vcc_lo, s28, v13
	v_cmp_eq_u32_e64 s0, s29, v8
	v_cndmask_b32_e64 v13, 0, -1, vcc_lo
	v_cmp_le_u32_e32 vcc_lo, s29, v10
	v_cndmask_b32_e64 v14, 0, -1, vcc_lo
	v_cmp_le_u32_e32 vcc_lo, s28, v7
	;; [unrolled: 2-line block ×3, first 2 shown]
	v_cndmask_b32_e64 v15, 0, -1, vcc_lo
	v_cmp_eq_u32_e32 vcc_lo, s29, v10
	v_cndmask_b32_e64 v7, v15, v7, s0
	v_cndmask_b32_e32 v10, v14, v13, vcc_lo
	v_add_co_u32 v13, vcc_lo, v4, 1
	v_add_co_ci_u32_e32 v14, vcc_lo, 0, v9, vcc_lo
	v_cmp_ne_u32_e32 vcc_lo, 0, v10
	v_cndmask_b32_e32 v8, v14, v12, vcc_lo
	v_cndmask_b32_e32 v10, v13, v11, vcc_lo
	v_cmp_ne_u32_e32 vcc_lo, 0, v7
	v_cndmask_b32_e32 v23, v9, v8, vcc_lo
	v_cndmask_b32_e32 v22, v4, v10, vcc_lo
.LBB0_4:                                ;   in Loop: Header=BB0_2 Depth=1
	s_andn2_saveexec_b32 s0, s1
	s_cbranch_execz .LBB0_6
; %bb.5:                                ;   in Loop: Header=BB0_2 Depth=1
	v_cvt_f32_u32_e32 v4, s28
	s_sub_i32 s1, 0, s28
	v_mov_b32_e32 v23, v3
	v_rcp_iflag_f32_e32 v4, v4
	v_mul_f32_e32 v4, 0x4f7ffffe, v4
	v_cvt_u32_f32_e32 v4, v4
	v_mul_lo_u32 v7, s1, v4
	v_mul_hi_u32 v7, v4, v7
	v_add_nc_u32_e32 v4, v4, v7
	v_mul_hi_u32 v4, v5, v4
	v_mul_lo_u32 v7, v4, s28
	v_add_nc_u32_e32 v8, 1, v4
	v_sub_nc_u32_e32 v7, v5, v7
	v_subrev_nc_u32_e32 v9, s28, v7
	v_cmp_le_u32_e32 vcc_lo, s28, v7
	v_cndmask_b32_e32 v7, v7, v9, vcc_lo
	v_cndmask_b32_e32 v4, v4, v8, vcc_lo
	v_cmp_le_u32_e32 vcc_lo, s28, v7
	v_add_nc_u32_e32 v8, 1, v4
	v_cndmask_b32_e32 v22, v4, v8, vcc_lo
.LBB0_6:                                ;   in Loop: Header=BB0_2 Depth=1
	s_or_b32 exec_lo, exec_lo, s0
	v_mul_lo_u32 v4, v23, s28
	v_mul_lo_u32 v9, v22, s29
	s_load_dwordx2 s[0:1], s[22:23], 0x0
	v_mad_u64_u32 v[7:8], null, v22, s28, 0
	s_load_dwordx2 s[28:29], s[6:7], 0x0
	s_add_u32 s26, s26, 1
	s_addc_u32 s27, s27, 0
	s_add_u32 s6, s6, 8
	s_addc_u32 s7, s7, 0
	s_add_u32 s22, s22, 8
	v_add3_u32 v4, v8, v9, v4
	v_sub_co_u32 v5, vcc_lo, v5, v7
	s_addc_u32 s23, s23, 0
	s_add_u32 s24, s24, 8
	v_sub_co_ci_u32_e32 v4, vcc_lo, v6, v4, vcc_lo
	s_addc_u32 s25, s25, 0
	s_waitcnt lgkmcnt(0)
	v_mul_lo_u32 v6, s0, v4
	v_mul_lo_u32 v7, s1, v5
	v_mad_u64_u32 v[1:2], null, s0, v5, v[1:2]
	v_mul_lo_u32 v4, s28, v4
	v_mul_lo_u32 v8, s29, v5
	v_mad_u64_u32 v[20:21], null, s28, v5, v[20:21]
	v_cmp_ge_u64_e64 s0, s[26:27], s[14:15]
	v_add3_u32 v2, v7, v2, v6
	v_add3_u32 v21, v8, v21, v4
	s_and_b32 vcc_lo, exec_lo, s0
	s_cbranch_vccnz .LBB0_9
; %bb.7:                                ;   in Loop: Header=BB0_2 Depth=1
	v_mov_b32_e32 v5, v22
	v_mov_b32_e32 v6, v23
	s_branch .LBB0_2
.LBB0_8:
	v_mov_b32_e32 v21, v2
	v_mov_b32_e32 v23, v6
	;; [unrolled: 1-line block ×4, first 2 shown]
.LBB0_9:
	s_load_dwordx2 s[0:1], s[4:5], 0x28
	v_mul_hi_u32 v3, 0x2082083, v0
	s_lshl_b64 s[6:7], s[14:15], 3
                                        ; implicit-def: $vgpr32
                                        ; implicit-def: $vgpr34
                                        ; implicit-def: $vgpr6
                                        ; implicit-def: $vgpr8
	s_add_u32 s4, s18, s6
	s_addc_u32 s5, s19, s7
	s_waitcnt lgkmcnt(0)
	v_cmp_gt_u64_e32 vcc_lo, s[0:1], v[22:23]
	v_cmp_le_u64_e64 s0, s[0:1], v[22:23]
	s_and_saveexec_b32 s1, s0
	s_xor_b32 s0, exec_lo, s1
; %bb.10:
	v_mul_u32_u24_e32 v1, 0x7e, v3
                                        ; implicit-def: $vgpr3
	v_sub_nc_u32_e32 v32, v0, v1
                                        ; implicit-def: $vgpr0
                                        ; implicit-def: $vgpr1_vgpr2
	v_add_nc_u32_e32 v34, 0x7e, v32
	v_add_nc_u32_e32 v6, 0xfc, v32
	;; [unrolled: 1-line block ×3, first 2 shown]
; %bb.11:
	s_andn2_saveexec_b32 s1, s0
	s_cbranch_execz .LBB0_13
; %bb.12:
	s_add_u32 s6, s16, s6
	s_addc_u32 s7, s17, s7
	v_mul_u32_u24_e32 v3, 0x7e, v3
	s_load_dwordx2 s[6:7], s[6:7], 0x0
	v_lshlrev_b64 v[1:2], 3, v[1:2]
	v_sub_nc_u32_e32 v32, v0, v3
	v_add_nc_u32_e32 v8, 0x17a, v32
	v_add_nc_u32_e32 v34, 0x7e, v32
	v_mad_u64_u32 v[3:4], null, s20, v32, 0
	v_add_nc_u32_e32 v6, 0xfc, v32
	v_mad_u64_u32 v[13:14], null, s20, v8, 0
	v_mad_u64_u32 v[9:10], null, s20, v34, 0
	v_mad_u64_u32 v[11:12], null, s20, v6, 0
	s_waitcnt lgkmcnt(0)
	v_mul_lo_u32 v17, s7, v22
	v_mul_lo_u32 v18, s6, v23
	v_mad_u64_u32 v[15:16], null, s6, v22, 0
	v_mov_b32_e32 v0, v4
	v_mov_b32_e32 v7, v14
	v_add_nc_u32_e32 v26, 0x1f8, v32
	v_add_nc_u32_e32 v31, 0x372, v32
	v_mad_u64_u32 v[4:5], null, s21, v32, v[0:1]
	v_add3_u32 v16, v16, v18, v17
	v_mov_b32_e32 v0, v10
	v_mov_b32_e32 v5, v12
	v_mad_u64_u32 v[24:25], null, s21, v8, v[7:8]
	v_lshlrev_b64 v[14:15], 3, v[15:16]
	v_mad_u64_u32 v[17:18], null, s21, v34, v[0:1]
	v_mad_u64_u32 v[18:19], null, s21, v6, v[5:6]
	v_lshlrev_b64 v[3:4], 3, v[3:4]
	v_add_co_u32 v0, s0, s8, v14
	v_add_co_ci_u32_e64 v5, s0, s9, v15, s0
	v_mov_b32_e32 v10, v17
	v_add_co_u32 v29, s0, v0, v1
	v_add_co_ci_u32_e64 v30, s0, v5, v2, s0
	v_mov_b32_e32 v12, v18
	v_add_co_u32 v2, s0, v29, v3
	v_add_nc_u32_e32 v18, 0x276, v32
	v_add_co_ci_u32_e64 v3, s0, v30, v4, s0
	v_mad_u64_u32 v[4:5], null, s20, v26, 0
	v_lshlrev_b64 v[0:1], 3, v[9:10]
	v_lshlrev_b64 v[9:10], 3, v[11:12]
	v_mov_b32_e32 v14, v24
	v_mad_u64_u32 v[11:12], null, s20, v18, 0
	v_add_nc_u32_e32 v24, 0x2f4, v32
	v_mad_u64_u32 v[15:16], null, s21, v26, v[5:6]
	v_add_co_u32 v0, s0, v29, v0
	v_lshlrev_b64 v[13:14], 3, v[13:14]
	v_mad_u64_u32 v[16:17], null, s20, v24, 0
	v_add_co_ci_u32_e64 v1, s0, v30, v1, s0
	v_add_co_u32 v9, s0, v29, v9
	v_mov_b32_e32 v7, v12
	v_add_co_ci_u32_e64 v10, s0, v30, v10, s0
	v_add_co_u32 v12, s0, v29, v13
	v_add_co_ci_u32_e64 v13, s0, v30, v14, s0
	v_mov_b32_e32 v5, v15
	v_mad_u64_u32 v[14:15], null, s21, v18, v[7:8]
	v_mov_b32_e32 v7, v17
	v_add_nc_u32_e32 v15, 0x3f0, v32
	v_mad_u64_u32 v[18:19], null, s20, v31, 0
	s_clause 0x3
	global_load_dwordx2 v[2:3], v[2:3], off
	global_load_dwordx2 v[0:1], v[0:1], off
	;; [unrolled: 1-line block ×4, first 2 shown]
	v_mad_u64_u32 v[24:25], null, s21, v24, v[7:8]
	v_mad_u64_u32 v[25:26], null, s20, v15, 0
	v_mov_b32_e32 v12, v14
	v_mov_b32_e32 v7, v19
	v_lshlrev_b64 v[4:5], 3, v[4:5]
	v_mov_b32_e32 v17, v24
	v_lshlrev_b64 v[11:12], 3, v[11:12]
	v_mad_u64_u32 v[13:14], null, s21, v31, v[7:8]
	v_mov_b32_e32 v7, v26
	v_add_co_u32 v4, s0, v29, v4
	v_add_co_ci_u32_e64 v5, s0, v30, v5, s0
	v_mad_u64_u32 v[14:15], null, s21, v15, v[7:8]
	v_lshlrev_b64 v[15:16], 3, v[16:17]
	v_mov_b32_e32 v19, v13
	v_add_co_u32 v11, s0, v29, v11
	v_add_co_ci_u32_e64 v12, s0, v30, v12, s0
	v_mov_b32_e32 v26, v14
	v_lshlrev_b64 v[17:18], 3, v[18:19]
	v_add_co_u32 v13, s0, v29, v15
	v_add_co_ci_u32_e64 v14, s0, v30, v16, s0
	v_lshlrev_b64 v[15:16], 3, v[25:26]
	v_add_co_u32 v17, s0, v29, v17
	v_add_co_ci_u32_e64 v18, s0, v30, v18, s0
	v_lshl_add_u32 v7, v32, 3, 0
	v_add_co_u32 v15, s0, v29, v15
	v_add_co_ci_u32_e64 v16, s0, v30, v16, s0
	s_clause 0x4
	global_load_dwordx2 v[4:5], v[4:5], off
	global_load_dwordx2 v[11:12], v[11:12], off
	;; [unrolled: 1-line block ×5, first 2 shown]
	v_add_nc_u32_e32 v19, 0x400, v7
	v_add_nc_u32_e32 v24, 0xc00, v7
	;; [unrolled: 1-line block ×3, first 2 shown]
	s_waitcnt vmcnt(7)
	ds_write2_b64 v7, v[2:3], v[0:1] offset1:126
	s_waitcnt vmcnt(5)
	ds_write2_b64 v19, v[9:10], v[27:28] offset0:124 offset1:250
	s_waitcnt vmcnt(3)
	ds_write2_b64 v24, v[4:5], v[11:12] offset0:120 offset1:246
	;; [unrolled: 2-line block ×3, first 2 shown]
	s_waitcnt vmcnt(0)
	ds_write_b64 v7, v[15:16] offset:8064
.LBB0_13:
	s_or_b32 exec_lo, exec_lo, s1
	v_lshlrev_b32_e32 v9, 3, v32
	s_load_dwordx2 s[4:5], s[4:5], 0x0
	s_waitcnt lgkmcnt(0)
	s_barrier
	buffer_gl0_inv
	v_add_nc_u32_e32 v33, 0, v9
	v_lshl_add_u32 v11, v6, 4, 0
	v_lshl_add_u32 v12, v8, 4, 0
	v_cmp_gt_u32_e64 s0, 63, v32
	v_add_nc_u32_e32 v7, 0xc00, v33
	v_add_nc_u32_e32 v4, 0x1400, v33
	;; [unrolled: 1-line block ×3, first 2 shown]
	ds_read2_b64 v[13:16], v33 offset1:126
	v_add_nc_u32_e32 v10, 0x1c00, v33
	ds_read2_b64 v[0:3], v7 offset0:120 offset1:183
	ds_read2_b64 v[24:27], v4 offset0:53 offset1:179
	;; [unrolled: 1-line block ×4, first 2 shown]
	v_lshl_add_u32 v5, v34, 4, 0
	v_add_nc_u32_e32 v10, v33, v9
	s_waitcnt lgkmcnt(0)
	s_barrier
	buffer_gl0_inv
	v_sub_f32_e32 v17, v15, v24
	v_sub_f32_e32 v2, v13, v2
	;; [unrolled: 1-line block ×9, first 2 shown]
	v_fma_f32 v13, v13, 2.0, -v2
	v_fma_f32 v14, v14, 2.0, -v3
	v_sub_f32_e32 v25, v1, v38
	v_fma_f32 v15, v15, 2.0, -v17
	v_fma_f32 v16, v16, 2.0, -v18
	;; [unrolled: 1-line block ×6, first 2 shown]
	ds_write2_b64 v10, v[13:14], v[2:3] offset1:1
	ds_write2_b64 v5, v[15:16], v[17:18] offset1:1
	;; [unrolled: 1-line block ×4, first 2 shown]
	s_and_saveexec_b32 s1, s0
	s_cbranch_execz .LBB0_15
; %bb.14:
	v_fma_f32 v1, v1, 2.0, -v25
	v_fma_f32 v0, v0, 2.0, -v24
	v_add3_u32 v2, v33, v9, 0x1f80
	ds_write2_b64 v2, v[0:1], v[24:25] offset1:1
.LBB0_15:
	s_or_b32 exec_lo, exec_lo, s1
	v_and_b32_e32 v19, 1, v32
	s_waitcnt lgkmcnt(0)
	s_barrier
	buffer_gl0_inv
	v_lshlrev_b32_e32 v1, 3, v8
	v_lshlrev_b32_e32 v0, 4, v19
	v_lshlrev_b32_e32 v39, 3, v6
	v_lshrrev_b32_e32 v40, 1, v32
	v_lshrrev_b32_e32 v41, 1, v34
	;; [unrolled: 1-line block ×3, first 2 shown]
	global_load_dwordx4 v[13:16], v0, s[12:13]
	v_lshlrev_b32_e32 v0, 3, v34
	v_mov_b32_e32 v43, 0xaaab
	v_sub_nc_u32_e32 v3, v12, v1
	v_sub_nc_u32_e32 v1, v11, v39
	ds_read2_b64 v[26:29], v4 offset0:116 offset1:242
	v_sub_nc_u32_e32 v2, v5, v0
	ds_read2_b64 v[35:38], v7 offset0:120 offset1:246
	ds_read_b64 v[17:18], v33
	ds_read_b64 v[30:31], v33 offset:8064
	v_mul_u32_u24_e32 v11, 6, v40
	v_mul_lo_u32 v12, v41, 6
	v_mul_lo_u32 v45, v42, 6
	v_mul_u32_u24_sdwa v48, v6, v43 dst_sel:DWORD dst_unused:UNUSED_PAD src0_sel:WORD_0 src1_sel:DWORD
	ds_read_b64 v[39:40], v2
	ds_read_b64 v[41:42], v3
	;; [unrolled: 1-line block ×3, first 2 shown]
	v_and_b32_e32 v9, 0xff, v32
	v_and_b32_e32 v10, 0xff, v34
	v_mov_b32_e32 v8, 4
	v_or_b32_e32 v11, v11, v19
	v_lshrrev_b32_e32 v48, 18, v48
	v_mul_lo_u16 v46, 0xab, v9
	v_mul_lo_u16 v47, 0xab, v10
	v_or_b32_e32 v50, v12, v19
	v_or_b32_e32 v19, v45, v19
	v_lshl_add_u32 v11, v11, 3, 0
	v_lshrrev_b16 v46, 10, v46
	v_lshrrev_b16 v47, 10, v47
	v_lshl_add_u32 v50, v50, 3, 0
	v_lshl_add_u32 v19, v19, 3, 0
	s_waitcnt vmcnt(0) lgkmcnt(0)
	v_mul_lo_u16 v49, v46, 6
	v_mul_lo_u16 v45, v47, 6
	s_barrier
	buffer_gl0_inv
	v_cmp_gt_u32_e64 s0, 36, v32
	v_sub_nc_u16 v12, v32, v49
	v_mul_lo_u16 v49, v48, 6
	v_sub_nc_u16 v45, v34, v45
	v_mul_u32_u24_e32 v48, 0x90, v48
	v_lshlrev_b32_sdwa v51, v8, v12 dst_sel:DWORD dst_unused:UNUSED_PAD src0_sel:DWORD src1_sel:BYTE_0
	v_mul_f32_e32 v52, v14, v42
	v_mul_f32_e32 v53, v14, v41
	;; [unrolled: 1-line block ×12, first 2 shown]
	v_fmac_f32_e32 v54, v15, v26
	v_fma_f32 v26, v15, v27, -v55
	v_fmac_f32_e32 v56, v15, v28
	v_fmac_f32_e32 v52, v13, v41
	v_fma_f32 v28, v13, v42, -v53
	v_fma_f32 v27, v15, v29, -v57
	v_fmac_f32_e32 v58, v13, v35
	v_fma_f32 v29, v13, v36, -v59
	v_fmac_f32_e32 v60, v13, v37
	v_fma_f32 v13, v13, v38, -v14
	v_fmac_f32_e32 v61, v15, v30
	v_fma_f32 v30, v15, v31, -v16
	v_add_f32_e32 v15, v52, v54
	v_sub_f32_e32 v31, v28, v26
	v_add_f32_e32 v16, v18, v28
	v_add_f32_e32 v28, v28, v26
	v_add_f32_e32 v37, v58, v56
	v_sub_f32_e32 v38, v29, v27
	v_add_f32_e32 v41, v40, v29
	v_add_f32_e32 v29, v29, v27
	;; [unrolled: 4-line block ×3, first 2 shown]
	v_add_f32_e32 v14, v17, v52
	v_sub_f32_e32 v35, v52, v54
	v_fma_f32 v17, -0.5, v15, v17
	v_fmac_f32_e32 v18, -0.5, v28
	v_add_f32_e32 v57, v44, v13
	v_fma_f32 v39, -0.5, v37, v39
	v_fmac_f32_e32 v40, -0.5, v29
	v_add_f32_e32 v52, v43, v60
	v_sub_f32_e32 v55, v13, v30
	v_sub_f32_e32 v59, v60, v61
	v_fma_f32 v43, -0.5, v53, v43
	v_fmac_f32_e32 v44, -0.5, v58
	v_add_f32_e32 v13, v14, v54
	v_add_f32_e32 v14, v16, v26
	v_fmamk_f32 v28, v31, 0xbf5db3d7, v17
	v_fmamk_f32 v29, v35, 0x3f5db3d7, v18
	v_fmac_f32_e32 v17, 0x3f5db3d7, v31
	v_fmac_f32_e32 v18, 0xbf5db3d7, v35
	v_add_f32_e32 v15, v36, v56
	v_add_f32_e32 v16, v41, v27
	;; [unrolled: 1-line block ×3, first 2 shown]
	v_fmamk_f32 v30, v38, 0xbf5db3d7, v39
	v_fmamk_f32 v31, v42, 0x3f5db3d7, v40
	v_fmac_f32_e32 v39, 0x3f5db3d7, v38
	v_fmac_f32_e32 v40, 0xbf5db3d7, v42
	v_add_f32_e32 v26, v52, v61
	v_fmamk_f32 v35, v55, 0xbf5db3d7, v43
	v_fmamk_f32 v36, v59, 0x3f5db3d7, v44
	v_fmac_f32_e32 v43, 0x3f5db3d7, v55
	v_fmac_f32_e32 v44, 0xbf5db3d7, v59
	ds_write2_b64 v11, v[13:14], v[28:29] offset1:2
	ds_write_b64 v11, v[17:18] offset:32
	ds_write2_b64 v50, v[15:16], v[30:31] offset1:2
	ds_write_b64 v50, v[39:40] offset:32
	;; [unrolled: 2-line block ×3, first 2 shown]
	s_waitcnt lgkmcnt(0)
	s_barrier
	buffer_gl0_inv
	global_load_dwordx4 v[13:16], v51, s[12:13] offset:32
	v_lshlrev_b32_sdwa v11, v8, v45 dst_sel:DWORD dst_unused:UNUSED_PAD src0_sel:DWORD src1_sel:BYTE_0
	v_sub_nc_u16 v19, v6, v49
	v_mul_lo_u16 v17, v9, 57
	v_mul_lo_u16 v18, v10, 57
	ds_read2_b64 v[39:42], v4 offset0:116 offset1:242
	global_load_dwordx4 v[26:29], v11, s[12:13] offset:32
	v_lshlrev_b32_sdwa v11, v8, v19 dst_sel:DWORD dst_unused:UNUSED_PAD src0_sel:DWORD src1_sel:WORD_0
	v_lshrrev_b16 v53, 10, v17
	v_mov_b32_e32 v17, 0x90
	v_lshrrev_b16 v54, 10, v18
	v_mul_lo_u16 v9, v9, 19
	global_load_dwordx4 v[35:38], v11, s[12:13] offset:32
	v_mov_b32_e32 v11, 0xe38f
	v_mul_u32_u24_sdwa v43, v46, v17 dst_sel:DWORD dst_unused:UNUSED_PAD src0_sel:WORD_0 src1_sel:DWORD
	v_mul_u32_u24_sdwa v47, v47, v17 dst_sel:DWORD dst_unused:UNUSED_PAD src0_sel:WORD_0 src1_sel:DWORD
	ds_read_b64 v[17:18], v3
	v_mul_lo_u16 v31, v54, 18
	v_mul_u32_u24_sdwa v30, v6, v11 dst_sel:DWORD dst_unused:UNUSED_PAD src0_sel:WORD_0 src1_sel:DWORD
	v_mov_b32_e32 v11, 3
	v_mul_lo_u16 v10, v10, 19
	v_sub_nc_u16 v57, v34, v31
	v_lshrrev_b32_e32 v55, 20, v30
	v_mul_lo_u16 v30, v53, 18
	v_lshlrev_b32_sdwa v12, v11, v12 dst_sel:DWORD dst_unused:UNUSED_PAD src0_sel:DWORD src1_sel:BYTE_0
	v_lshlrev_b32_sdwa v19, v11, v19 dst_sel:DWORD dst_unused:UNUSED_PAD src0_sel:DWORD src1_sel:WORD_0
	v_lshlrev_b32_sdwa v60, v8, v57 dst_sel:DWORD dst_unused:UNUSED_PAD src0_sel:DWORD src1_sel:BYTE_0
	v_mul_lo_u16 v44, v55, 18
	v_sub_nc_u16 v56, v32, v30
	v_lshlrev_b32_sdwa v30, v11, v45 dst_sel:DWORD dst_unused:UNUSED_PAD src0_sel:DWORD src1_sel:BYTE_0
	v_add3_u32 v61, 0, v43, v12
	v_add3_u32 v63, 0, v48, v19
	v_sub_nc_u16 v58, v6, v44
	ds_read2_b64 v[43:46], v7 offset0:120 offset1:246
	v_add3_u32 v62, 0, v47, v30
	ds_read_b64 v[30:31], v2
	ds_read_b64 v[47:48], v33 offset:8064
	ds_read_b64 v[49:50], v33
	ds_read_b64 v[51:52], v1
	v_lshlrev_b32_sdwa v59, v8, v56 dst_sel:DWORD dst_unused:UNUSED_PAD src0_sel:DWORD src1_sel:BYTE_0
	s_waitcnt vmcnt(0) lgkmcnt(0)
	s_barrier
	buffer_gl0_inv
	v_mul_f32_e32 v12, v14, v18
	v_mul_f32_e32 v14, v14, v17
	;; [unrolled: 1-line block ×4, first 2 shown]
	v_fmac_f32_e32 v12, v13, v17
	v_fma_f32 v13, v13, v18, -v14
	v_mul_f32_e32 v14, v29, v42
	v_mul_f32_e32 v17, v29, v41
	v_fmac_f32_e32 v19, v15, v39
	v_fma_f32 v15, v15, v40, -v16
	v_mul_f32_e32 v16, v27, v44
	v_mul_f32_e32 v18, v27, v43
	;; [unrolled: 1-line block ×4, first 2 shown]
	v_fmac_f32_e32 v14, v28, v41
	v_fma_f32 v17, v28, v42, -v17
	v_mul_f32_e32 v28, v48, v38
	v_mul_f32_e32 v36, v47, v38
	v_fmac_f32_e32 v16, v26, v43
	v_fma_f32 v18, v26, v44, -v18
	v_fmac_f32_e32 v27, v35, v45
	v_fma_f32 v26, v35, v46, -v29
	;; [unrolled: 2-line block ×3, first 2 shown]
	v_add_f32_e32 v36, v12, v19
	v_add_f32_e32 v39, v13, v15
	v_add_f32_e32 v42, v16, v14
	v_sub_f32_e32 v43, v18, v17
	v_add_f32_e32 v44, v31, v18
	v_add_f32_e32 v18, v18, v17
	v_add_f32_e32 v46, v27, v28
	v_sub_f32_e32 v47, v26, v29
	;; [unrolled: 4-line block ×3, first 2 shown]
	v_add_f32_e32 v38, v50, v13
	v_sub_f32_e32 v40, v12, v19
	v_fma_f32 v49, -0.5, v36, v49
	v_fmac_f32_e32 v50, -0.5, v39
	v_add_f32_e32 v41, v30, v16
	v_sub_f32_e32 v45, v16, v14
	v_fma_f32 v30, -0.5, v42, v30
	v_fmac_f32_e32 v31, -0.5, v18
	;; [unrolled: 4-line block ×3, first 2 shown]
	v_add_f32_e32 v12, v35, v19
	v_add_f32_e32 v13, v38, v15
	v_fmamk_f32 v18, v37, 0xbf5db3d7, v49
	v_fmamk_f32 v19, v40, 0x3f5db3d7, v50
	v_fmac_f32_e32 v49, 0x3f5db3d7, v37
	v_fmac_f32_e32 v50, 0xbf5db3d7, v40
	v_add_f32_e32 v14, v41, v14
	v_add_f32_e32 v15, v44, v17
	v_fmamk_f32 v26, v43, 0xbf5db3d7, v30
	v_fmamk_f32 v27, v45, 0x3f5db3d7, v31
	v_fmac_f32_e32 v30, 0x3f5db3d7, v43
	v_fmac_f32_e32 v31, 0xbf5db3d7, v45
	v_add_f32_e32 v16, v16, v28
	v_add_f32_e32 v17, v48, v29
	v_fmamk_f32 v28, v47, 0xbf5db3d7, v51
	v_fmamk_f32 v29, v64, 0x3f5db3d7, v52
	v_fmac_f32_e32 v51, 0x3f5db3d7, v47
	v_fmac_f32_e32 v52, 0xbf5db3d7, v64
	ds_write2_b64 v61, v[12:13], v[18:19] offset1:6
	ds_write_b64 v61, v[49:50] offset:96
	ds_write2_b64 v62, v[14:15], v[26:27] offset1:6
	ds_write_b64 v62, v[30:31] offset:96
	;; [unrolled: 2-line block ×3, first 2 shown]
	s_waitcnt lgkmcnt(0)
	s_barrier
	buffer_gl0_inv
	s_clause 0x1
	global_load_dwordx4 v[12:15], v59, s[12:13] offset:128
	global_load_dwordx4 v[16:19], v60, s[12:13] offset:128
	v_lshlrev_b32_sdwa v26, v8, v58 dst_sel:DWORD dst_unused:UNUSED_PAD src0_sel:DWORD src1_sel:WORD_0
	v_lshrrev_b16 v30, 1, v6
	v_mov_b32_e32 v31, 0x97b5
	v_lshrrev_b16 v49, 10, v9
	v_lshrrev_b16 v50, 10, v10
	global_load_dwordx4 v[26:29], v26, s[12:13] offset:128
	v_lshlrev_b32_sdwa v43, v11, v57 dst_sel:DWORD dst_unused:UNUSED_PAD src0_sel:DWORD src1_sel:BYTE_0
	v_mul_u32_u24_sdwa v30, v30, v31 dst_sel:DWORD dst_unused:UNUSED_PAD src0_sel:WORD_0 src1_sel:DWORD
	v_mul_lo_u16 v9, v49, 54
	v_mov_b32_e32 v31, 0x1b0
	v_mul_lo_u16 v35, v50, 54
	v_mul_u32_u24_e32 v47, 0x1b0, v55
	v_lshrrev_b32_e32 v51, 20, v30
	v_sub_nc_u16 v52, v32, v9
	ds_read_b64 v[9:10], v3
	v_mul_u32_u24_sdwa v30, v53, v31 dst_sel:DWORD dst_unused:UNUSED_PAD src0_sel:WORD_0 src1_sel:DWORD
	v_mul_u32_u24_sdwa v31, v54, v31 dst_sel:DWORD dst_unused:UNUSED_PAD src0_sel:WORD_0 src1_sel:DWORD
	v_mul_lo_u16 v39, v51, 54
	v_sub_nc_u16 v53, v34, v35
	ds_read2_b64 v[35:38], v4 offset0:116 offset1:242
	v_lshlrev_b32_sdwa v48, v11, v58 dst_sel:DWORD dst_unused:UNUSED_PAD src0_sel:DWORD src1_sel:WORD_0
	v_add3_u32 v57, 0, v31, v43
	v_sub_nc_u16 v54, v6, v39
	v_lshlrev_b32_sdwa v6, v11, v56 dst_sel:DWORD dst_unused:UNUSED_PAD src0_sel:DWORD src1_sel:BYTE_0
	ds_read2_b64 v[39:42], v7 offset0:120 offset1:246
	v_add3_u32 v58, 0, v47, v48
	v_lshlrev_b32_sdwa v55, v8, v52 dst_sel:DWORD dst_unused:UNUSED_PAD src0_sel:DWORD src1_sel:BYTE_0
	v_lshlrev_b32_sdwa v56, v8, v53 dst_sel:DWORD dst_unused:UNUSED_PAD src0_sel:DWORD src1_sel:BYTE_0
	v_add3_u32 v6, 0, v30, v6
	ds_read_b64 v[30:31], v33
	ds_read_b64 v[43:44], v2
	ds_read_b64 v[45:46], v33 offset:8064
	ds_read_b64 v[47:48], v1
	s_waitcnt vmcnt(0) lgkmcnt(0)
	s_barrier
	buffer_gl0_inv
	v_mul_f32_e32 v59, v13, v10
	v_mul_f32_e32 v13, v13, v9
	;; [unrolled: 1-line block ×7, first 2 shown]
	v_fmac_f32_e32 v59, v12, v9
	v_fma_f32 v9, v12, v10, -v13
	v_mul_f32_e32 v10, v17, v39
	v_mul_f32_e32 v12, v27, v42
	v_fmac_f32_e32 v60, v14, v35
	v_fma_f32 v13, v14, v36, -v15
	v_mul_f32_e32 v14, v27, v41
	v_mul_f32_e32 v15, v46, v29
	;; [unrolled: 1-line block ×3, first 2 shown]
	v_fmac_f32_e32 v61, v18, v37
	v_fma_f32 v18, v18, v38, -v19
	v_fmac_f32_e32 v62, v16, v39
	v_fma_f32 v10, v16, v40, -v10
	;; [unrolled: 2-line block ×4, first 2 shown]
	v_add_f32_e32 v19, v59, v60
	v_add_f32_e32 v28, v9, v13
	v_add_f32_e32 v36, v62, v61
	v_add_f32_e32 v39, v10, v18
	v_add_f32_e32 v17, v30, v59
	v_sub_f32_e32 v29, v59, v60
	v_add_f32_e32 v42, v12, v15
	v_add_f32_e32 v59, v14, v16
	v_sub_f32_e32 v26, v9, v13
	v_add_f32_e32 v27, v31, v9
	v_add_f32_e32 v41, v47, v12
	;; [unrolled: 1-line block ×3, first 2 shown]
	v_fma_f32 v30, -0.5, v19, v30
	v_fmac_f32_e32 v31, -0.5, v28
	v_add_f32_e32 v35, v43, v62
	v_sub_f32_e32 v37, v10, v18
	v_add_f32_e32 v38, v44, v10
	v_sub_f32_e32 v40, v62, v61
	v_fma_f32 v43, -0.5, v36, v43
	v_fmac_f32_e32 v44, -0.5, v39
	v_sub_f32_e32 v45, v14, v16
	v_sub_f32_e32 v62, v12, v15
	v_fma_f32 v47, -0.5, v42, v47
	v_fmac_f32_e32 v48, -0.5, v59
	v_add_f32_e32 v9, v17, v60
	v_add_f32_e32 v10, v27, v13
	v_add_f32_e32 v14, v41, v15
	v_add_f32_e32 v15, v46, v16
	v_fmamk_f32 v16, v26, 0xbf5db3d7, v30
	v_fmamk_f32 v17, v29, 0x3f5db3d7, v31
	v_fmac_f32_e32 v30, 0x3f5db3d7, v26
	v_fmac_f32_e32 v31, 0xbf5db3d7, v29
	v_add_f32_e32 v12, v35, v61
	v_add_f32_e32 v13, v38, v18
	v_fmamk_f32 v18, v37, 0xbf5db3d7, v43
	v_fmamk_f32 v19, v40, 0x3f5db3d7, v44
	v_fmac_f32_e32 v43, 0x3f5db3d7, v37
	v_fmac_f32_e32 v44, 0xbf5db3d7, v40
	v_fmamk_f32 v26, v45, 0xbf5db3d7, v47
	v_fmamk_f32 v27, v62, 0x3f5db3d7, v48
	v_fmac_f32_e32 v47, 0x3f5db3d7, v45
	v_fmac_f32_e32 v48, 0xbf5db3d7, v62
	ds_write2_b64 v6, v[9:10], v[16:17] offset1:18
	ds_write_b64 v6, v[30:31] offset:288
	ds_write2_b64 v57, v[12:13], v[18:19] offset1:18
	ds_write_b64 v57, v[43:44] offset:288
	;; [unrolled: 2-line block ×3, first 2 shown]
	v_lshlrev_b32_sdwa v6, v8, v54 dst_sel:DWORD dst_unused:UNUSED_PAD src0_sel:DWORD src1_sel:WORD_0
	s_waitcnt lgkmcnt(0)
	s_barrier
	buffer_gl0_inv
	s_clause 0x2
	global_load_dwordx4 v[12:15], v55, s[12:13] offset:416
	global_load_dwordx4 v[16:19], v56, s[12:13] offset:416
	;; [unrolled: 1-line block ×3, first 2 shown]
	v_mov_b32_e32 v6, 0x510
	ds_read_b64 v[40:41], v3
	ds_read2_b64 v[36:39], v4 offset0:116 offset1:242
	v_lshlrev_b32_sdwa v43, v11, v52 dst_sel:DWORD dst_unused:UNUSED_PAD src0_sel:DWORD src1_sel:BYTE_0
	v_lshlrev_b32_sdwa v44, v11, v53 dst_sel:DWORD dst_unused:UNUSED_PAD src0_sel:DWORD src1_sel:BYTE_0
	v_mul_u32_u24_sdwa v26, v49, v6 dst_sel:DWORD dst_unused:UNUSED_PAD src0_sel:WORD_0 src1_sel:DWORD
	v_mul_u32_u24_sdwa v27, v50, v6 dst_sel:DWORD dst_unused:UNUSED_PAD src0_sel:WORD_0 src1_sel:DWORD
	ds_read2_b64 v[6:9], v7 offset0:120 offset1:246
	v_lshlrev_b32_sdwa v45, v11, v54 dst_sel:DWORD dst_unused:UNUSED_PAD src0_sel:DWORD src1_sel:WORD_0
	ds_read_b64 v[2:3], v2
	ds_read_b64 v[10:11], v33 offset:8064
	v_mul_u32_u24_e32 v42, 0x510, v51
	v_add3_u32 v46, 0, v26, v43
	v_add3_u32 v44, 0, v27, v44
	v_add_nc_u32_e32 v35, 0x800, v33
	v_add3_u32 v45, 0, v42, v45
	ds_read_b64 v[42:43], v33
	ds_read_b64 v[26:27], v1
	s_waitcnt vmcnt(0) lgkmcnt(0)
	s_barrier
	buffer_gl0_inv
	v_mul_f32_e32 v1, v13, v41
	v_mul_f32_e32 v13, v13, v40
	;; [unrolled: 1-line block ×12, first 2 shown]
	v_fmac_f32_e32 v1, v12, v40
	v_fma_f32 v12, v12, v41, -v13
	v_fmac_f32_e32 v47, v14, v36
	v_fma_f32 v13, v14, v37, -v15
	;; [unrolled: 2-line block ×6, first 2 shown]
	v_add_f32_e32 v9, v1, v47
	v_sub_f32_e32 v15, v12, v13
	v_add_f32_e32 v10, v43, v12
	v_add_f32_e32 v12, v12, v13
	;; [unrolled: 1-line block ×7, first 2 shown]
	v_sub_f32_e32 v1, v1, v47
	v_fma_f32 v42, -0.5, v9, v42
	v_fmac_f32_e32 v43, -0.5, v12
	v_add_f32_e32 v16, v2, v48
	v_sub_f32_e32 v18, v6, v14
	v_add_f32_e32 v19, v3, v6
	v_sub_f32_e32 v29, v48, v49
	v_fma_f32 v2, -0.5, v17, v2
	v_fmac_f32_e32 v3, -0.5, v28
	v_add_f32_e32 v30, v26, v50
	v_sub_f32_e32 v36, v7, v11
	v_add_f32_e32 v37, v27, v7
	v_sub_f32_e32 v39, v50, v51
	v_fma_f32 v26, -0.5, v31, v26
	v_fmac_f32_e32 v27, -0.5, v38
	v_add_f32_e32 v6, v8, v47
	v_add_f32_e32 v7, v10, v13
	v_fmamk_f32 v12, v15, 0xbf5db3d7, v42
	v_fmamk_f32 v13, v1, 0x3f5db3d7, v43
	v_fmac_f32_e32 v42, 0x3f5db3d7, v15
	v_fmac_f32_e32 v43, 0xbf5db3d7, v1
	v_add_f32_e32 v8, v16, v49
	v_add_f32_e32 v9, v19, v14
	v_fmamk_f32 v14, v18, 0xbf5db3d7, v2
	v_fmamk_f32 v15, v29, 0x3f5db3d7, v3
	v_fmac_f32_e32 v2, 0x3f5db3d7, v18
	v_fmac_f32_e32 v3, 0xbf5db3d7, v29
	;; [unrolled: 6-line block ×3, first 2 shown]
	ds_write2_b64 v46, v[6:7], v[12:13] offset1:54
	ds_write_b64 v46, v[42:43] offset:864
	ds_write2_b64 v44, v[8:9], v[14:15] offset1:54
	ds_write_b64 v44, v[2:3] offset:864
	;; [unrolled: 2-line block ×3, first 2 shown]
	s_waitcnt lgkmcnt(0)
	s_barrier
	buffer_gl0_inv
	ds_read2_b64 v[8:11], v33 offset1:162
	ds_read2_b64 v[16:19], v35 offset0:68 offset1:230
	ds_read2_b64 v[12:15], v4 offset0:8 offset1:170
	ds_read_b64 v[30:31], v33 offset:7776
                                        ; implicit-def: $vgpr3
                                        ; implicit-def: $vgpr7
	s_and_saveexec_b32 s1, s0
	s_cbranch_execz .LBB0_17
; %bb.16:
	v_sub_nc_u32_e32 v0, 0, v0
	v_add_nc_u32_e32 v1, 0xc00, v33
	v_add_nc_u32_e32 v2, 0x1200, v33
	;; [unrolled: 1-line block ×4, first 2 shown]
	ds_read2_b32 v[24:25], v1 offset0:132 offset1:133
	ds_read2_b64 v[0:3], v2 offset0:36 offset1:198
	ds_read_b64 v[28:29], v4
	ds_read_b64 v[26:27], v33 offset:2304
	ds_read2_b64 v[4:7], v5 offset0:40 offset1:202
.LBB0_17:
	s_or_b32 exec_lo, exec_lo, s1
	v_mul_u32_u24_e32 v36, 6, v32
	v_add_nc_u32_e32 v48, 0x1400, v33
	v_lshlrev_b32_e32 v44, 3, v36
	s_clause 0x2
	global_load_dwordx4 v[36:39], v44, s[12:13] offset:1280
	global_load_dwordx4 v[40:43], v44, s[12:13] offset:1296
	;; [unrolled: 1-line block ×3, first 2 shown]
	s_waitcnt vmcnt(0) lgkmcnt(0)
	s_barrier
	buffer_gl0_inv
	v_mul_f32_e32 v49, v37, v11
	v_mul_f32_e32 v37, v37, v10
	;; [unrolled: 1-line block ×12, first 2 shown]
	v_fmac_f32_e32 v49, v36, v10
	v_fma_f32 v10, v36, v11, -v37
	v_fmac_f32_e32 v50, v38, v16
	v_fma_f32 v11, v38, v17, -v39
	v_fmac_f32_e32 v52, v42, v12
	v_fmac_f32_e32 v54, v46, v30
	v_fma_f32 v12, v46, v31, -v47
	v_fmac_f32_e32 v53, v44, v14
	v_fma_f32 v14, v44, v15, -v45
	;; [unrolled: 2-line block ×3, first 2 shown]
	v_fma_f32 v13, v42, v13, -v43
	v_add_f32_e32 v15, v49, v54
	v_add_f32_e32 v17, v10, v12
	v_sub_f32_e32 v10, v10, v12
	v_add_f32_e32 v12, v50, v53
	v_add_f32_e32 v19, v11, v14
	v_sub_f32_e32 v30, v50, v53
	v_sub_f32_e32 v11, v11, v14
	v_add_f32_e32 v14, v51, v52
	v_add_f32_e32 v31, v16, v13
	v_sub_f32_e32 v36, v52, v51
	;; [unrolled: 4-line block ×3, first 2 shown]
	v_sub_f32_e32 v38, v12, v15
	v_sub_f32_e32 v39, v19, v17
	;; [unrolled: 1-line block ×6, first 2 shown]
	v_add_f32_e32 v40, v36, v30
	v_add_f32_e32 v41, v13, v11
	v_sub_f32_e32 v42, v36, v30
	v_sub_f32_e32 v43, v13, v11
	;; [unrolled: 1-line block ×3, first 2 shown]
	v_add_f32_e32 v14, v14, v16
	v_add_f32_e32 v16, v31, v37
	v_sub_f32_e32 v30, v30, v18
	v_sub_f32_e32 v36, v18, v36
	;; [unrolled: 1-line block ×3, first 2 shown]
	v_add_f32_e32 v18, v40, v18
	v_add_f32_e32 v10, v41, v10
	v_mul_f32_e32 v15, 0x3f4a47b2, v15
	v_mul_f32_e32 v17, 0x3f4a47b2, v17
	;; [unrolled: 1-line block ×7, first 2 shown]
	v_add_f32_e32 v8, v14, v8
	v_add_f32_e32 v9, v16, v9
	v_mul_f32_e32 v42, 0xbf5ff5aa, v30
	v_fmamk_f32 v12, v12, 0x3d64c772, v15
	v_fmamk_f32 v19, v19, 0x3d64c772, v17
	v_fma_f32 v31, 0x3f3bfb3b, v38, -v31
	v_fma_f32 v37, 0x3f3bfb3b, v39, -v37
	;; [unrolled: 1-line block ×4, first 2 shown]
	v_fmamk_f32 v38, v36, 0xbeae86e6, v40
	v_fmamk_f32 v39, v13, 0xbeae86e6, v41
	v_fma_f32 v30, 0xbf5ff5aa, v30, -v40
	v_fma_f32 v40, 0xbf5ff5aa, v11, -v41
	v_fma_f32 v41, 0x3eae86e6, v13, -v43
	v_fmamk_f32 v11, v14, 0xbf955555, v8
	v_fmamk_f32 v13, v16, 0xbf955555, v9
	v_fma_f32 v36, 0x3eae86e6, v36, -v42
	v_fmac_f32_e32 v38, 0xbee1c552, v18
	v_fmac_f32_e32 v39, 0xbee1c552, v10
	v_add_f32_e32 v42, v12, v11
	v_add_f32_e32 v43, v19, v13
	v_fmac_f32_e32 v30, 0xbee1c552, v18
	v_fmac_f32_e32 v40, 0xbee1c552, v10
	;; [unrolled: 1-line block ×4, first 2 shown]
	v_add_f32_e32 v16, v31, v11
	v_add_f32_e32 v18, v15, v11
	;; [unrolled: 1-line block ×5, first 2 shown]
	v_sub_f32_e32 v11, v43, v38
	v_add_f32_e32 v12, v41, v18
	v_sub_f32_e32 v13, v19, v36
	v_sub_f32_e32 v14, v16, v40
	v_add_f32_e32 v15, v30, v17
	v_add_f32_e32 v16, v40, v16
	v_sub_f32_e32 v17, v17, v30
	v_sub_f32_e32 v18, v18, v41
	v_add_f32_e32 v19, v36, v19
	v_sub_f32_e32 v30, v42, v39
	v_add_f32_e32 v31, v38, v43
	ds_write2_b64 v33, v[8:9], v[10:11] offset1:162
	ds_write2_b64 v35, v[12:13], v[14:15] offset0:68 offset1:230
	ds_write2_b64 v48, v[16:17], v[18:19] offset0:8 offset1:170
	ds_write_b64 v33, v[30:31] offset:7776
	s_and_saveexec_b32 s1, s0
	s_cbranch_execz .LBB0_19
; %bb.18:
	v_subrev_nc_u32_e32 v8, 36, v32
	v_mov_b32_e32 v9, 0
	v_add_nc_u32_e32 v30, 0x200, v33
	v_add_nc_u32_e32 v31, 0xc00, v33
	v_cndmask_b32_e64 v8, v8, v34, s0
	v_add_nc_u32_e32 v34, 0x1800, v33
	v_mul_i32_i24_e32 v8, 6, v8
	v_lshlrev_b64 v[8:9], 3, v[8:9]
	v_add_co_u32 v16, s0, s12, v8
	v_add_co_ci_u32_e64 v17, s0, s13, v9, s0
	s_clause 0x2
	global_load_dwordx4 v[8:11], v[16:17], off offset:1280
	global_load_dwordx4 v[12:15], v[16:17], off offset:1312
	;; [unrolled: 1-line block ×3, first 2 shown]
	s_waitcnt vmcnt(2)
	v_mul_f32_e32 v35, v27, v9
	s_waitcnt vmcnt(1)
	v_mul_f32_e32 v36, v7, v15
	;; [unrolled: 2-line block ×3, first 2 shown]
	v_mul_f32_e32 v38, v1, v17
	v_mul_f32_e32 v39, v25, v11
	;; [unrolled: 1-line block ×9, first 2 shown]
	v_fmac_f32_e32 v35, v26, v8
	v_fmac_f32_e32 v36, v6, v14
	;; [unrolled: 1-line block ×6, first 2 shown]
	v_fma_f32 v0, v7, v14, -v15
	v_fma_f32 v2, v27, v8, -v9
	;; [unrolled: 1-line block ×6, first 2 shown]
	v_add_f32_e32 v9, v2, v0
	v_add_f32_e32 v12, v35, v36
	;; [unrolled: 1-line block ×4, first 2 shown]
	v_sub_f32_e32 v6, v35, v36
	v_sub_f32_e32 v7, v37, v38
	;; [unrolled: 1-line block ×3, first 2 shown]
	v_add_f32_e32 v10, v1, v3
	v_add_f32_e32 v13, v38, v37
	v_sub_f32_e32 v0, v2, v0
	v_sub_f32_e32 v1, v3, v1
	;; [unrolled: 1-line block ×3, first 2 shown]
	v_add_f32_e32 v16, v11, v9
	v_add_f32_e32 v19, v14, v12
	v_sub_f32_e32 v3, v6, v7
	v_sub_f32_e32 v4, v7, v8
	v_add_f32_e32 v5, v7, v8
	v_sub_f32_e32 v7, v9, v10
	v_sub_f32_e32 v15, v10, v11
	;; [unrolled: 1-line block ×6, first 2 shown]
	v_add_f32_e32 v1, v1, v2
	v_sub_f32_e32 v8, v8, v6
	v_add_f32_e32 v10, v10, v16
	v_add_f32_e32 v13, v13, v19
	v_sub_f32_e32 v2, v2, v0
	v_sub_f32_e32 v9, v11, v9
	;; [unrolled: 1-line block ×3, first 2 shown]
	v_mul_f32_e32 v4, 0x3f08b237, v4
	v_add_f32_e32 v5, v5, v6
	v_mul_f32_e32 v6, 0x3f4a47b2, v7
	v_mul_f32_e32 v7, 0x3d64c772, v15
	;; [unrolled: 1-line block ×4, first 2 shown]
	v_add_f32_e32 v17, v1, v0
	v_mul_f32_e32 v19, 0xbf5ff5aa, v8
	v_add_f32_e32 v1, v29, v10
	v_add_f32_e32 v0, v28, v13
	v_mul_f32_e32 v14, 0x3d64c772, v18
	v_mul_f32_e32 v25, 0xbf5ff5aa, v2
	v_fmamk_f32 v26, v3, 0xbeae86e6, v4
	v_fmamk_f32 v15, v15, 0x3d64c772, v6
	;; [unrolled: 1-line block ×4, first 2 shown]
	v_fma_f32 v19, 0x3eae86e6, v3, -v19
	v_fma_f32 v3, 0xbf3bfb3b, v9, -v6
	;; [unrolled: 1-line block ×3, first 2 shown]
	v_fmamk_f32 v9, v10, 0xbf955555, v1
	v_fmamk_f32 v10, v13, 0xbf955555, v0
	v_fma_f32 v6, 0xbf3bfb3b, v11, -v12
	v_fma_f32 v24, 0x3eae86e6, v24, -v25
	;; [unrolled: 1-line block ×5, first 2 shown]
	v_fmac_f32_e32 v26, 0xbee1c552, v5
	v_fmac_f32_e32 v27, 0xbee1c552, v17
	v_add_f32_e32 v12, v15, v9
	v_add_f32_e32 v14, v18, v10
	v_fmac_f32_e32 v19, 0xbee1c552, v5
	v_fmac_f32_e32 v24, 0xbee1c552, v17
	;; [unrolled: 1-line block ×4, first 2 shown]
	v_add_f32_e32 v11, v3, v9
	v_add_f32_e32 v6, v6, v10
	;; [unrolled: 1-line block ×5, first 2 shown]
	v_sub_f32_e32 v13, v12, v26
	v_add_f32_e32 v12, v27, v14
	v_add_f32_e32 v5, v19, v11
	v_sub_f32_e32 v7, v9, v8
	v_add_f32_e32 v9, v8, v9
	v_sub_f32_e32 v8, v15, v2
	v_sub_f32_e32 v11, v11, v19
	v_add_f32_e32 v10, v24, v6
	v_sub_f32_e32 v4, v6, v24
	v_add_f32_e32 v6, v2, v15
	v_sub_f32_e32 v2, v14, v27
	ds_write2_b64 v30, v[0:1], v[12:13] offset0:62 offset1:224
	ds_write2_b64 v31, v[10:11], v[8:9] offset0:66 offset1:228
	;; [unrolled: 1-line block ×3, first 2 shown]
	ds_write_b64 v33, v[2:3] offset:8784
.LBB0_19:
	s_or_b32 exec_lo, exec_lo, s1
	s_waitcnt lgkmcnt(0)
	s_barrier
	buffer_gl0_inv
	s_and_saveexec_b32 s0, vcc_lo
	s_cbranch_execz .LBB0_21
; %bb.20:
	v_mul_lo_u32 v2, s5, v22
	v_mul_lo_u32 v3, s4, v23
	v_mad_u64_u32 v[0:1], null, s4, v22, 0
	v_mad_u64_u32 v[4:5], null, s2, v32, 0
	v_add_nc_u32_e32 v12, 0x7e, v32
	v_add_nc_u32_e32 v13, 0xfc, v32
	v_lshlrev_b64 v[6:7], 3, v[20:21]
	v_lshl_add_u32 v22, v32, 3, 0
	v_add3_u32 v1, v1, v3, v2
	v_mad_u64_u32 v[8:9], null, s2, v12, 0
	v_mov_b32_e32 v2, v5
	v_mad_u64_u32 v[10:11], null, s2, v13, 0
	v_lshlrev_b64 v[0:1], 3, v[0:1]
	v_add_nc_u32_e32 v17, 0x276, v32
	v_mad_u64_u32 v[2:3], null, s3, v32, v[2:3]
	v_add_nc_u32_e32 v19, 0x2f4, v32
	v_add_nc_u32_e32 v20, 0x372, v32
	v_add_co_u32 v14, vcc_lo, s10, v0
	v_add_co_ci_u32_e32 v15, vcc_lo, s11, v1, vcc_lo
	v_mov_b32_e32 v5, v2
	v_add_co_u32 v23, vcc_lo, v14, v6
	ds_read2_b64 v[0:3], v22 offset1:126
	v_add_co_ci_u32_e32 v24, vcc_lo, v15, v7, vcc_lo
	v_mov_b32_e32 v6, v9
	v_mov_b32_e32 v7, v11
	v_add_nc_u32_e32 v14, 0x17a, v32
	v_lshlrev_b64 v[4:5], 3, v[4:5]
	v_add_nc_u32_e32 v21, 0x3f0, v32
	v_mad_u64_u32 v[11:12], null, s3, v12, v[6:7]
	v_mad_u64_u32 v[6:7], null, s3, v13, v[7:8]
	;; [unrolled: 1-line block ×3, first 2 shown]
	v_add_co_u32 v4, vcc_lo, v23, v4
	v_add_co_ci_u32_e32 v5, vcc_lo, v24, v5, vcc_lo
	v_mov_b32_e32 v9, v11
	v_mov_b32_e32 v11, v6
	;; [unrolled: 1-line block ×3, first 2 shown]
	s_waitcnt lgkmcnt(0)
	global_store_dwordx2 v[4:5], v[0:1], off
	v_lshlrev_b64 v[0:1], 3, v[8:9]
	v_add_nc_u32_e32 v9, 0x400, v22
	v_mad_u64_u32 v[4:5], null, s3, v14, v[7:8]
	v_add_nc_u32_e32 v14, 0x1f8, v32
	v_lshlrev_b64 v[5:6], 3, v[10:11]
	v_add_co_u32 v0, vcc_lo, v23, v0
	v_add_co_ci_u32_e32 v1, vcc_lo, v24, v1, vcc_lo
	v_mad_u64_u32 v[7:8], null, s2, v14, 0
	v_mov_b32_e32 v13, v4
	v_add_co_u32 v4, vcc_lo, v23, v5
	v_add_co_ci_u32_e32 v5, vcc_lo, v24, v6, vcc_lo
	global_store_dwordx2 v[0:1], v[2:3], off
	v_mov_b32_e32 v6, v8
	ds_read2_b64 v[0:3], v9 offset0:124 offset1:250
	v_lshlrev_b64 v[8:9], 3, v[12:13]
	v_mad_u64_u32 v[10:11], null, s3, v14, v[6:7]
	v_mad_u64_u32 v[11:12], null, s2, v17, 0
	;; [unrolled: 1-line block ×3, first 2 shown]
	v_add_co_u32 v15, vcc_lo, v23, v8
	v_add_co_ci_u32_e32 v16, vcc_lo, v24, v9, vcc_lo
	v_mov_b32_e32 v6, v12
	v_mov_b32_e32 v8, v10
	;; [unrolled: 1-line block ×3, first 2 shown]
	v_add_nc_u32_e32 v12, 0xc00, v22
	s_waitcnt lgkmcnt(0)
	global_store_dwordx2 v[4:5], v[0:1], off
	global_store_dwordx2 v[15:16], v[2:3], off
	v_mad_u64_u32 v[17:18], null, s3, v17, v[6:7]
	v_mad_u64_u32 v[9:10], null, s3, v19, v[9:10]
	;; [unrolled: 1-line block ×3, first 2 shown]
	ds_read2_b64 v[0:3], v12 offset0:120 offset1:246
	v_lshlrev_b64 v[4:5], 3, v[7:8]
	v_mov_b32_e32 v12, v17
	v_add_nc_u32_e32 v7, 0x1400, v22
	v_mov_b32_e32 v14, v9
	v_mad_u64_u32 v[8:9], null, s2, v21, 0
	v_mov_b32_e32 v6, v19
	v_lshlrev_b64 v[10:11], 3, v[11:12]
	v_lshlrev_b64 v[12:13], 3, v[13:14]
	v_mad_u64_u32 v[15:16], null, s3, v20, v[6:7]
	v_mad_u64_u32 v[20:21], null, s3, v21, v[9:10]
	v_add_co_u32 v16, vcc_lo, v23, v4
	v_add_co_ci_u32_e32 v17, vcc_lo, v24, v5, vcc_lo
	ds_read2_b64 v[4:7], v7 offset0:116 offset1:242
	v_mov_b32_e32 v19, v15
	ds_read_b64 v[14:15], v22 offset:8064
	v_mov_b32_e32 v9, v20
	v_add_co_u32 v10, vcc_lo, v23, v10
	v_lshlrev_b64 v[18:19], 3, v[18:19]
	v_add_co_ci_u32_e32 v11, vcc_lo, v24, v11, vcc_lo
	v_add_co_u32 v12, vcc_lo, v23, v12
	v_lshlrev_b64 v[8:9], 3, v[8:9]
	v_add_co_ci_u32_e32 v13, vcc_lo, v24, v13, vcc_lo
	v_add_co_u32 v18, vcc_lo, v23, v18
	v_add_co_ci_u32_e32 v19, vcc_lo, v24, v19, vcc_lo
	v_add_co_u32 v8, vcc_lo, v23, v8
	v_add_co_ci_u32_e32 v9, vcc_lo, v24, v9, vcc_lo
	s_waitcnt lgkmcnt(2)
	global_store_dwordx2 v[16:17], v[0:1], off
	global_store_dwordx2 v[10:11], v[2:3], off
	s_waitcnt lgkmcnt(1)
	global_store_dwordx2 v[12:13], v[4:5], off
	global_store_dwordx2 v[18:19], v[6:7], off
	s_waitcnt lgkmcnt(0)
	global_store_dwordx2 v[8:9], v[14:15], off
.LBB0_21:
	s_endpgm
	.section	.rodata,"a",@progbits
	.p2align	6, 0x0
	.amdhsa_kernel fft_rtc_back_len1134_factors_2_3_3_3_3_7_wgs_126_tpt_126_sp_op_CI_CI_sbrr_dirReg
		.amdhsa_group_segment_fixed_size 0
		.amdhsa_private_segment_fixed_size 0
		.amdhsa_kernarg_size 104
		.amdhsa_user_sgpr_count 6
		.amdhsa_user_sgpr_private_segment_buffer 1
		.amdhsa_user_sgpr_dispatch_ptr 0
		.amdhsa_user_sgpr_queue_ptr 0
		.amdhsa_user_sgpr_kernarg_segment_ptr 1
		.amdhsa_user_sgpr_dispatch_id 0
		.amdhsa_user_sgpr_flat_scratch_init 0
		.amdhsa_user_sgpr_private_segment_size 0
		.amdhsa_wavefront_size32 1
		.amdhsa_uses_dynamic_stack 0
		.amdhsa_system_sgpr_private_segment_wavefront_offset 0
		.amdhsa_system_sgpr_workgroup_id_x 1
		.amdhsa_system_sgpr_workgroup_id_y 0
		.amdhsa_system_sgpr_workgroup_id_z 0
		.amdhsa_system_sgpr_workgroup_info 0
		.amdhsa_system_vgpr_workitem_id 0
		.amdhsa_next_free_vgpr 65
		.amdhsa_next_free_sgpr 31
		.amdhsa_reserve_vcc 1
		.amdhsa_reserve_flat_scratch 0
		.amdhsa_float_round_mode_32 0
		.amdhsa_float_round_mode_16_64 0
		.amdhsa_float_denorm_mode_32 3
		.amdhsa_float_denorm_mode_16_64 3
		.amdhsa_dx10_clamp 1
		.amdhsa_ieee_mode 1
		.amdhsa_fp16_overflow 0
		.amdhsa_workgroup_processor_mode 1
		.amdhsa_memory_ordered 1
		.amdhsa_forward_progress 0
		.amdhsa_shared_vgpr_count 0
		.amdhsa_exception_fp_ieee_invalid_op 0
		.amdhsa_exception_fp_denorm_src 0
		.amdhsa_exception_fp_ieee_div_zero 0
		.amdhsa_exception_fp_ieee_overflow 0
		.amdhsa_exception_fp_ieee_underflow 0
		.amdhsa_exception_fp_ieee_inexact 0
		.amdhsa_exception_int_div_zero 0
	.end_amdhsa_kernel
	.text
.Lfunc_end0:
	.size	fft_rtc_back_len1134_factors_2_3_3_3_3_7_wgs_126_tpt_126_sp_op_CI_CI_sbrr_dirReg, .Lfunc_end0-fft_rtc_back_len1134_factors_2_3_3_3_3_7_wgs_126_tpt_126_sp_op_CI_CI_sbrr_dirReg
                                        ; -- End function
	.section	.AMDGPU.csdata,"",@progbits
; Kernel info:
; codeLenInByte = 7400
; NumSgprs: 33
; NumVgprs: 65
; ScratchSize: 0
; MemoryBound: 0
; FloatMode: 240
; IeeeMode: 1
; LDSByteSize: 0 bytes/workgroup (compile time only)
; SGPRBlocks: 4
; VGPRBlocks: 8
; NumSGPRsForWavesPerEU: 33
; NumVGPRsForWavesPerEU: 65
; Occupancy: 12
; WaveLimiterHint : 1
; COMPUTE_PGM_RSRC2:SCRATCH_EN: 0
; COMPUTE_PGM_RSRC2:USER_SGPR: 6
; COMPUTE_PGM_RSRC2:TRAP_HANDLER: 0
; COMPUTE_PGM_RSRC2:TGID_X_EN: 1
; COMPUTE_PGM_RSRC2:TGID_Y_EN: 0
; COMPUTE_PGM_RSRC2:TGID_Z_EN: 0
; COMPUTE_PGM_RSRC2:TIDIG_COMP_CNT: 0
	.text
	.p2alignl 6, 3214868480
	.fill 48, 4, 3214868480
	.type	__hip_cuid_90ebc3ffc5b4f020,@object ; @__hip_cuid_90ebc3ffc5b4f020
	.section	.bss,"aw",@nobits
	.globl	__hip_cuid_90ebc3ffc5b4f020
__hip_cuid_90ebc3ffc5b4f020:
	.byte	0                               ; 0x0
	.size	__hip_cuid_90ebc3ffc5b4f020, 1

	.ident	"AMD clang version 19.0.0git (https://github.com/RadeonOpenCompute/llvm-project roc-6.4.0 25133 c7fe45cf4b819c5991fe208aaa96edf142730f1d)"
	.section	".note.GNU-stack","",@progbits
	.addrsig
	.addrsig_sym __hip_cuid_90ebc3ffc5b4f020
	.amdgpu_metadata
---
amdhsa.kernels:
  - .args:
      - .actual_access:  read_only
        .address_space:  global
        .offset:         0
        .size:           8
        .value_kind:     global_buffer
      - .offset:         8
        .size:           8
        .value_kind:     by_value
      - .actual_access:  read_only
        .address_space:  global
        .offset:         16
        .size:           8
        .value_kind:     global_buffer
      - .actual_access:  read_only
        .address_space:  global
        .offset:         24
        .size:           8
        .value_kind:     global_buffer
      - .actual_access:  read_only
        .address_space:  global
        .offset:         32
        .size:           8
        .value_kind:     global_buffer
      - .offset:         40
        .size:           8
        .value_kind:     by_value
      - .actual_access:  read_only
        .address_space:  global
        .offset:         48
        .size:           8
        .value_kind:     global_buffer
      - .actual_access:  read_only
        .address_space:  global
        .offset:         56
        .size:           8
        .value_kind:     global_buffer
      - .offset:         64
        .size:           4
        .value_kind:     by_value
      - .actual_access:  read_only
        .address_space:  global
        .offset:         72
        .size:           8
        .value_kind:     global_buffer
      - .actual_access:  read_only
        .address_space:  global
        .offset:         80
        .size:           8
        .value_kind:     global_buffer
      - .actual_access:  read_only
        .address_space:  global
        .offset:         88
        .size:           8
        .value_kind:     global_buffer
      - .actual_access:  write_only
        .address_space:  global
        .offset:         96
        .size:           8
        .value_kind:     global_buffer
    .group_segment_fixed_size: 0
    .kernarg_segment_align: 8
    .kernarg_segment_size: 104
    .language:       OpenCL C
    .language_version:
      - 2
      - 0
    .max_flat_workgroup_size: 126
    .name:           fft_rtc_back_len1134_factors_2_3_3_3_3_7_wgs_126_tpt_126_sp_op_CI_CI_sbrr_dirReg
    .private_segment_fixed_size: 0
    .sgpr_count:     33
    .sgpr_spill_count: 0
    .symbol:         fft_rtc_back_len1134_factors_2_3_3_3_3_7_wgs_126_tpt_126_sp_op_CI_CI_sbrr_dirReg.kd
    .uniform_work_group_size: 1
    .uses_dynamic_stack: false
    .vgpr_count:     65
    .vgpr_spill_count: 0
    .wavefront_size: 32
    .workgroup_processor_mode: 1
amdhsa.target:   amdgcn-amd-amdhsa--gfx1030
amdhsa.version:
  - 1
  - 2
...

	.end_amdgpu_metadata
